;; amdgpu-corpus repo=ROCm/rocFFT kind=compiled arch=gfx1030 opt=O3
	.text
	.amdgcn_target "amdgcn-amd-amdhsa--gfx1030"
	.amdhsa_code_object_version 6
	.protected	fft_rtc_fwd_len1456_factors_13_4_7_2_2_wgs_182_tpt_182_halfLds_half_ip_CI_unitstride_sbrr_R2C_dirReg ; -- Begin function fft_rtc_fwd_len1456_factors_13_4_7_2_2_wgs_182_tpt_182_halfLds_half_ip_CI_unitstride_sbrr_R2C_dirReg
	.globl	fft_rtc_fwd_len1456_factors_13_4_7_2_2_wgs_182_tpt_182_halfLds_half_ip_CI_unitstride_sbrr_R2C_dirReg
	.p2align	8
	.type	fft_rtc_fwd_len1456_factors_13_4_7_2_2_wgs_182_tpt_182_halfLds_half_ip_CI_unitstride_sbrr_R2C_dirReg,@function
fft_rtc_fwd_len1456_factors_13_4_7_2_2_wgs_182_tpt_182_halfLds_half_ip_CI_unitstride_sbrr_R2C_dirReg: ; @fft_rtc_fwd_len1456_factors_13_4_7_2_2_wgs_182_tpt_182_halfLds_half_ip_CI_unitstride_sbrr_R2C_dirReg
; %bb.0:
	s_clause 0x2
	s_load_dwordx4 s[8:11], s[4:5], 0x0
	s_load_dwordx2 s[2:3], s[4:5], 0x50
	s_load_dwordx2 s[12:13], s[4:5], 0x18
	v_mul_u32_u24_e32 v1, 0x169, v0
	v_mov_b32_e32 v3, 0
	v_add_nc_u32_sdwa v5, s6, v1 dst_sel:DWORD dst_unused:UNUSED_PAD src0_sel:DWORD src1_sel:WORD_1
	v_mov_b32_e32 v1, 0
	v_mov_b32_e32 v6, v3
	v_mov_b32_e32 v2, 0
	s_waitcnt lgkmcnt(0)
	v_cmp_lt_u64_e64 s0, s[10:11], 2
	s_and_b32 vcc_lo, exec_lo, s0
	s_cbranch_vccnz .LBB0_8
; %bb.1:
	s_load_dwordx2 s[0:1], s[4:5], 0x10
	v_mov_b32_e32 v1, 0
	s_add_u32 s6, s12, 8
	v_mov_b32_e32 v2, 0
	s_addc_u32 s7, s13, 0
	s_mov_b64 s[16:17], 1
	s_waitcnt lgkmcnt(0)
	s_add_u32 s14, s0, 8
	s_addc_u32 s15, s1, 0
.LBB0_2:                                ; =>This Inner Loop Header: Depth=1
	s_load_dwordx2 s[18:19], s[14:15], 0x0
                                        ; implicit-def: $vgpr7_vgpr8
	s_mov_b32 s0, exec_lo
	s_waitcnt lgkmcnt(0)
	v_or_b32_e32 v4, s19, v6
	v_cmpx_ne_u64_e32 0, v[3:4]
	s_xor_b32 s1, exec_lo, s0
	s_cbranch_execz .LBB0_4
; %bb.3:                                ;   in Loop: Header=BB0_2 Depth=1
	v_cvt_f32_u32_e32 v4, s18
	v_cvt_f32_u32_e32 v7, s19
	s_sub_u32 s0, 0, s18
	s_subb_u32 s20, 0, s19
	v_fmac_f32_e32 v4, 0x4f800000, v7
	v_rcp_f32_e32 v4, v4
	v_mul_f32_e32 v4, 0x5f7ffffc, v4
	v_mul_f32_e32 v7, 0x2f800000, v4
	v_trunc_f32_e32 v7, v7
	v_fmac_f32_e32 v4, 0xcf800000, v7
	v_cvt_u32_f32_e32 v7, v7
	v_cvt_u32_f32_e32 v4, v4
	v_mul_lo_u32 v8, s0, v7
	v_mul_hi_u32 v9, s0, v4
	v_mul_lo_u32 v10, s20, v4
	v_add_nc_u32_e32 v8, v9, v8
	v_mul_lo_u32 v9, s0, v4
	v_add_nc_u32_e32 v8, v8, v10
	v_mul_hi_u32 v10, v4, v9
	v_mul_lo_u32 v11, v4, v8
	v_mul_hi_u32 v12, v4, v8
	v_mul_hi_u32 v13, v7, v9
	v_mul_lo_u32 v9, v7, v9
	v_mul_hi_u32 v14, v7, v8
	v_mul_lo_u32 v8, v7, v8
	v_add_co_u32 v10, vcc_lo, v10, v11
	v_add_co_ci_u32_e32 v11, vcc_lo, 0, v12, vcc_lo
	v_add_co_u32 v9, vcc_lo, v10, v9
	v_add_co_ci_u32_e32 v9, vcc_lo, v11, v13, vcc_lo
	v_add_co_ci_u32_e32 v10, vcc_lo, 0, v14, vcc_lo
	v_add_co_u32 v8, vcc_lo, v9, v8
	v_add_co_ci_u32_e32 v9, vcc_lo, 0, v10, vcc_lo
	v_add_co_u32 v4, vcc_lo, v4, v8
	v_add_co_ci_u32_e32 v7, vcc_lo, v7, v9, vcc_lo
	v_mul_hi_u32 v8, s0, v4
	v_mul_lo_u32 v10, s20, v4
	v_mul_lo_u32 v9, s0, v7
	v_add_nc_u32_e32 v8, v8, v9
	v_mul_lo_u32 v9, s0, v4
	v_add_nc_u32_e32 v8, v8, v10
	v_mul_hi_u32 v10, v4, v9
	v_mul_lo_u32 v11, v4, v8
	v_mul_hi_u32 v12, v4, v8
	v_mul_hi_u32 v13, v7, v9
	v_mul_lo_u32 v9, v7, v9
	v_mul_hi_u32 v14, v7, v8
	v_mul_lo_u32 v8, v7, v8
	v_add_co_u32 v10, vcc_lo, v10, v11
	v_add_co_ci_u32_e32 v11, vcc_lo, 0, v12, vcc_lo
	v_add_co_u32 v9, vcc_lo, v10, v9
	v_add_co_ci_u32_e32 v9, vcc_lo, v11, v13, vcc_lo
	v_add_co_ci_u32_e32 v10, vcc_lo, 0, v14, vcc_lo
	v_add_co_u32 v8, vcc_lo, v9, v8
	v_add_co_ci_u32_e32 v9, vcc_lo, 0, v10, vcc_lo
	v_add_co_u32 v4, vcc_lo, v4, v8
	v_add_co_ci_u32_e32 v11, vcc_lo, v7, v9, vcc_lo
	v_mul_hi_u32 v13, v5, v4
	v_mad_u64_u32 v[9:10], null, v6, v4, 0
	v_mad_u64_u32 v[7:8], null, v5, v11, 0
	;; [unrolled: 1-line block ×3, first 2 shown]
	v_add_co_u32 v4, vcc_lo, v13, v7
	v_add_co_ci_u32_e32 v7, vcc_lo, 0, v8, vcc_lo
	v_add_co_u32 v4, vcc_lo, v4, v9
	v_add_co_ci_u32_e32 v4, vcc_lo, v7, v10, vcc_lo
	v_add_co_ci_u32_e32 v7, vcc_lo, 0, v12, vcc_lo
	v_add_co_u32 v4, vcc_lo, v4, v11
	v_add_co_ci_u32_e32 v9, vcc_lo, 0, v7, vcc_lo
	v_mul_lo_u32 v10, s19, v4
	v_mad_u64_u32 v[7:8], null, s18, v4, 0
	v_mul_lo_u32 v11, s18, v9
	v_sub_co_u32 v7, vcc_lo, v5, v7
	v_add3_u32 v8, v8, v11, v10
	v_sub_nc_u32_e32 v10, v6, v8
	v_subrev_co_ci_u32_e64 v10, s0, s19, v10, vcc_lo
	v_add_co_u32 v11, s0, v4, 2
	v_add_co_ci_u32_e64 v12, s0, 0, v9, s0
	v_sub_co_u32 v13, s0, v7, s18
	v_sub_co_ci_u32_e32 v8, vcc_lo, v6, v8, vcc_lo
	v_subrev_co_ci_u32_e64 v10, s0, 0, v10, s0
	v_cmp_le_u32_e32 vcc_lo, s18, v13
	v_cmp_eq_u32_e64 s0, s19, v8
	v_cndmask_b32_e64 v13, 0, -1, vcc_lo
	v_cmp_le_u32_e32 vcc_lo, s19, v10
	v_cndmask_b32_e64 v14, 0, -1, vcc_lo
	v_cmp_le_u32_e32 vcc_lo, s18, v7
	;; [unrolled: 2-line block ×3, first 2 shown]
	v_cndmask_b32_e64 v15, 0, -1, vcc_lo
	v_cmp_eq_u32_e32 vcc_lo, s19, v10
	v_cndmask_b32_e64 v7, v15, v7, s0
	v_cndmask_b32_e32 v10, v14, v13, vcc_lo
	v_add_co_u32 v13, vcc_lo, v4, 1
	v_add_co_ci_u32_e32 v14, vcc_lo, 0, v9, vcc_lo
	v_cmp_ne_u32_e32 vcc_lo, 0, v10
	v_cndmask_b32_e32 v8, v14, v12, vcc_lo
	v_cndmask_b32_e32 v10, v13, v11, vcc_lo
	v_cmp_ne_u32_e32 vcc_lo, 0, v7
	v_cndmask_b32_e32 v8, v9, v8, vcc_lo
	v_cndmask_b32_e32 v7, v4, v10, vcc_lo
.LBB0_4:                                ;   in Loop: Header=BB0_2 Depth=1
	s_andn2_saveexec_b32 s0, s1
	s_cbranch_execz .LBB0_6
; %bb.5:                                ;   in Loop: Header=BB0_2 Depth=1
	v_cvt_f32_u32_e32 v4, s18
	s_sub_i32 s1, 0, s18
	v_rcp_iflag_f32_e32 v4, v4
	v_mul_f32_e32 v4, 0x4f7ffffe, v4
	v_cvt_u32_f32_e32 v4, v4
	v_mul_lo_u32 v7, s1, v4
	v_mul_hi_u32 v7, v4, v7
	v_add_nc_u32_e32 v4, v4, v7
	v_mul_hi_u32 v4, v5, v4
	v_mul_lo_u32 v7, v4, s18
	v_add_nc_u32_e32 v8, 1, v4
	v_sub_nc_u32_e32 v7, v5, v7
	v_subrev_nc_u32_e32 v9, s18, v7
	v_cmp_le_u32_e32 vcc_lo, s18, v7
	v_cndmask_b32_e32 v7, v7, v9, vcc_lo
	v_cndmask_b32_e32 v4, v4, v8, vcc_lo
	v_cmp_le_u32_e32 vcc_lo, s18, v7
	v_add_nc_u32_e32 v8, 1, v4
	v_cndmask_b32_e32 v7, v4, v8, vcc_lo
	v_mov_b32_e32 v8, v3
.LBB0_6:                                ;   in Loop: Header=BB0_2 Depth=1
	s_or_b32 exec_lo, exec_lo, s0
	s_load_dwordx2 s[0:1], s[6:7], 0x0
	v_mul_lo_u32 v4, v8, s18
	v_mul_lo_u32 v11, v7, s19
	v_mad_u64_u32 v[9:10], null, v7, s18, 0
	s_add_u32 s16, s16, 1
	s_addc_u32 s17, s17, 0
	s_add_u32 s6, s6, 8
	s_addc_u32 s7, s7, 0
	;; [unrolled: 2-line block ×3, first 2 shown]
	v_add3_u32 v4, v10, v11, v4
	v_sub_co_u32 v5, vcc_lo, v5, v9
	v_sub_co_ci_u32_e32 v4, vcc_lo, v6, v4, vcc_lo
	s_waitcnt lgkmcnt(0)
	v_mul_lo_u32 v6, s1, v5
	v_mul_lo_u32 v4, s0, v4
	v_mad_u64_u32 v[1:2], null, s0, v5, v[1:2]
	v_cmp_ge_u64_e64 s0, s[16:17], s[10:11]
	s_and_b32 vcc_lo, exec_lo, s0
	v_add3_u32 v2, v6, v2, v4
	s_cbranch_vccnz .LBB0_9
; %bb.7:                                ;   in Loop: Header=BB0_2 Depth=1
	v_mov_b32_e32 v5, v7
	v_mov_b32_e32 v6, v8
	s_branch .LBB0_2
.LBB0_8:
	v_mov_b32_e32 v8, v6
	v_mov_b32_e32 v7, v5
.LBB0_9:
	s_lshl_b64 s[0:1], s[10:11], 3
	v_mul_hi_u32 v3, 0x1681682, v0
	s_add_u32 s0, s12, s0
	s_addc_u32 s1, s13, s1
	s_load_dwordx2 s[0:1], s[0:1], 0x0
	s_load_dwordx2 s[4:5], s[4:5], 0x20
	v_mul_u32_u24_e32 v3, 0xb6, v3
	v_sub_nc_u32_e32 v0, v0, v3
	v_lshl_add_u32 v22, v0, 2, 0
	s_waitcnt lgkmcnt(0)
	v_mul_lo_u32 v4, s0, v8
	v_mul_lo_u32 v5, s1, v7
	v_mad_u64_u32 v[1:2], null, s0, v7, v[1:2]
	v_cmp_gt_u64_e32 vcc_lo, s[4:5], v[7:8]
	v_add3_u32 v2, v5, v2, v4
	v_lshlrev_b64 v[2:3], 2, v[1:2]
	s_and_saveexec_b32 s1, vcc_lo
	s_cbranch_execz .LBB0_11
; %bb.10:
	v_mov_b32_e32 v1, 0
	v_add_nc_u32_e32 v12, 0xb00, v22
	v_add_nc_u32_e32 v13, 0x1000, v22
	v_lshlrev_b64 v[4:5], 2, v[0:1]
	v_add_co_u32 v1, s0, s2, v2
	v_add_co_ci_u32_e64 v6, s0, s3, v3, s0
	v_add_co_u32 v4, s0, v1, v4
	v_add_co_ci_u32_e64 v5, s0, v6, v5, s0
	;; [unrolled: 2-line block ×4, first 2 shown]
	s_clause 0x7
	global_load_dword v1, v[4:5], off
	global_load_dword v10, v[4:5], off offset:728
	global_load_dword v4, v[4:5], off offset:1456
	;; [unrolled: 1-line block ×7, first 2 shown]
	v_add_nc_u32_e32 v9, 0x500, v22
	s_waitcnt vmcnt(6)
	ds_write2_b32 v22, v1, v10 offset1:182
	s_waitcnt vmcnt(4)
	ds_write2_b32 v9, v4, v5 offset0:44 offset1:226
	s_waitcnt vmcnt(2)
	ds_write2_b32 v12, v11, v6 offset0:24 offset1:206
	;; [unrolled: 2-line block ×3, first 2 shown]
.LBB0_11:
	s_or_b32 exec_lo, exec_lo, s1
	s_waitcnt lgkmcnt(0)
	s_barrier
	buffer_gl0_inv
	ds_read_b32 v27, v22 offset:5376
	ds_read2_b32 v[10:11], v22 offset1:112
	v_add_nc_u32_e32 v1, 0x200, v22
	v_add_nc_u32_e32 v8, 0x1000, v22
	ds_read2_b32 v[14:15], v1 offset0:96 offset1:208
	ds_read2_b32 v[12:13], v8 offset0:96 offset1:208
	v_add_nc_u32_e32 v26, 0x600, v22
	v_add_nc_u32_e32 v1, 0xa00, v22
	;; [unrolled: 1-line block ×3, first 2 shown]
	v_mov_b32_e32 v6, 0xbbf1
	v_mov_b32_e32 v9, 0xbb7b
	ds_read2_b32 v[20:21], v26 offset0:64 offset1:176
	ds_read2_b32 v[18:19], v1 offset0:32 offset1:144
	;; [unrolled: 1-line block ×3, first 2 shown]
	v_mov_b32_e32 v7, 0xb3a8
	v_mov_b32_e32 v23, 0x394e
	;; [unrolled: 1-line block ×6, first 2 shown]
	s_waitcnt lgkmcnt(5)
	v_pk_add_f16 v31, v11, v27 neg_lo:[0,1] neg_hi:[0,1]
	v_pk_add_f16 v28, v27, v11
	s_mov_b32 s1, exec_lo
	s_waitcnt lgkmcnt(0)
	s_barrier
	v_mul_f16_sdwa v41, v31, v6 dst_sel:DWORD dst_unused:UNUSED_PAD src0_sel:WORD_1 src1_sel:DWORD
	v_mul_f16_sdwa v47, v31, v9 dst_sel:DWORD dst_unused:UNUSED_PAD src0_sel:WORD_1 src1_sel:DWORD
	v_pk_add_f16 v30, v14, v13 neg_lo:[0,1] neg_hi:[0,1]
	v_pk_add_f16 v29, v13, v14
	v_pk_add_f16 v32, v15, v12 neg_lo:[0,1] neg_hi:[0,1]
	v_fmamk_f16 v1, v28, 0x2fb7, v41
	v_fmamk_f16 v4, v28, 0xb5ac, v47
	v_mul_f16_sdwa v42, v30, v7 dst_sel:DWORD dst_unused:UNUSED_PAD src0_sel:WORD_1 src1_sel:DWORD
	v_mul_f16_sdwa v48, v30, v23 dst_sel:DWORD dst_unused:UNUSED_PAD src0_sel:WORD_1 src1_sel:DWORD
	v_pk_add_f16 v35, v12, v15
	v_add_f16_e32 v1, v10, v1
	v_add_f16_e32 v4, v10, v4
	v_fmamk_f16 v25, v29, 0xbbc4, v42
	v_fmamk_f16 v33, v29, 0xb9fd, v48
	v_pk_add_f16 v34, v20, v17 neg_lo:[0,1] neg_hi:[0,1]
	v_mul_f16_sdwa v49, v32, v59 dst_sel:DWORD dst_unused:UNUSED_PAD src0_sel:WORD_1 src1_sel:DWORD
	v_mul_f16_sdwa v44, v32, v24 dst_sel:DWORD dst_unused:UNUSED_PAD src0_sel:WORD_1 src1_sel:DWORD
	v_add_f16_e32 v1, v25, v1
	v_add_f16_e32 v4, v33, v4
	v_pk_add_f16 v33, v17, v20
	v_fmamk_f16 v25, v35, 0x3b15, v49
	v_mul_f16_sdwa v51, v34, v6 dst_sel:DWORD dst_unused:UNUSED_PAD src0_sel:WORD_1 src1_sel:DWORD
	v_fmamk_f16 v24, v35, 0xb5ac, v44
	v_mul_f16_sdwa v43, v34, v59 dst_sel:DWORD dst_unused:UNUSED_PAD src0_sel:WORD_1 src1_sel:DWORD
	v_pk_add_f16 v37, v21, v16 neg_lo:[0,1] neg_hi:[0,1]
	v_add_f16_e32 v4, v25, v4
	v_fmamk_f16 v39, v33, 0x2fb7, v51
	v_mov_b32_e32 v23, 0xb94e
	v_add_f16_e32 v1, v24, v1
	v_fmamk_f16 v24, v33, 0x3b15, v43
	v_mov_b32_e32 v25, 0x33a8
	v_pk_add_f16 v36, v16, v21
	v_mul_f16_sdwa v46, v37, v55 dst_sel:DWORD dst_unused:UNUSED_PAD src0_sel:WORD_1 src1_sel:DWORD
	v_add_f16_e32 v4, v39, v4
	v_pk_add_f16 v39, v18, v19 neg_lo:[0,1] neg_hi:[0,1]
	v_mul_f16_sdwa v38, v31, v5 dst_sel:DWORD dst_unused:UNUSED_PAD src0_sel:WORD_1 src1_sel:DWORD
	v_add_f16_e32 v1, v24, v1
	v_mul_f16_sdwa v53, v37, v25 dst_sel:DWORD dst_unused:UNUSED_PAD src0_sel:WORD_1 src1_sel:DWORD
	v_mov_b32_e32 v24, 0x3a95
	v_fmamk_f16 v54, v36, 0x388b, v46
	v_pk_add_f16 v40, v19, v18
	v_mul_f16_sdwa v50, v39, v23 dst_sel:DWORD dst_unused:UNUSED_PAD src0_sel:WORD_1 src1_sel:DWORD
	v_lshrrev_b32_e32 v58, 16, v28
	v_mul_f16_e32 v45, 0xbbf1, v31
	v_fmamk_f16 v5, v28, 0x3b15, v38
	v_fmamk_f16 v57, v36, 0xbbc4, v53
	v_mul_f16_sdwa v56, v39, v24 dst_sel:DWORD dst_unused:UNUSED_PAD src0_sel:WORD_1 src1_sel:DWORD
	v_mul_f16_sdwa v52, v30, v55 dst_sel:DWORD dst_unused:UNUSED_PAD src0_sel:WORD_1 src1_sel:DWORD
	v_add_f16_e32 v1, v54, v1
	v_fmamk_f16 v24, v40, 0xb9fd, v50
	v_add_f16_e32 v4, v57, v4
	v_fmamk_f16 v54, v40, 0x388b, v56
	v_add_f16_e32 v57, v10, v5
	v_fma_f16 v60, v58, 0x2fb7, -v45
	v_fmamk_f16 v61, v29, 0x388b, v52
	v_add_f16_e32 v5, v24, v1
	v_lshrrev_b32_e32 v79, 16, v29
	v_mul_f16_e32 v63, 0xb3a8, v30
	v_mul_f16_sdwa v77, v31, v23 dst_sel:DWORD dst_unused:UNUSED_PAD src0_sel:WORD_1 src1_sel:DWORD
	v_mov_b32_e32 v24, 0x3bf1
	v_add_f16_e32 v4, v54, v4
	v_add_f16_sdwa v1, v10, v60 dst_sel:DWORD dst_unused:UNUSED_PAD src0_sel:WORD_1 src1_sel:DWORD
	v_mul_f16_e32 v83, 0xb94e, v31
	v_add_f16_e32 v57, v61, v57
	v_fma_f16 v60, v79, 0xbbc4, -v63
	v_fmamk_f16 v61, v28, 0xb9fd, v77
	v_mul_f16_sdwa v78, v30, v24 dst_sel:DWORD dst_unused:UNUSED_PAD src0_sel:WORD_1 src1_sel:DWORD
	v_mul_f16_sdwa v54, v32, v6 dst_sel:DWORD dst_unused:UNUSED_PAD src0_sel:WORD_1 src1_sel:DWORD
	v_lshrrev_b32_e32 v81, 16, v35
	v_mul_f16_e32 v67, 0x3b7b, v32
	v_fma_f16 v24, v58, 0xb9fd, -v83
	v_mul_f16_e32 v84, 0x3bf1, v30
	v_add_f16_e32 v6, v10, v61
	v_fmamk_f16 v61, v29, 0x2fb7, v78
	v_fmamk_f16 v64, v35, 0x2fb7, v54
	v_add_f16_e32 v1, v60, v1
	v_fma_f16 v60, v81, 0xb5ac, -v67
	v_mul_f16_sdwa v80, v32, v55 dst_sel:DWORD dst_unused:UNUSED_PAD src0_sel:WORD_1 src1_sel:DWORD
	v_mul_f16_sdwa v55, v34, v9 dst_sel:DWORD dst_unused:UNUSED_PAD src0_sel:WORD_1 src1_sel:DWORD
	v_add_f16_sdwa v24, v10, v24 dst_sel:DWORD dst_unused:UNUSED_PAD src0_sel:WORD_1 src1_sel:DWORD
	v_fma_f16 v62, v79, 0x2fb7, -v84
	v_add_f16_e32 v6, v61, v6
	v_add_f16_e32 v57, v64, v57
	v_mul_f16_e32 v87, 0xba95, v32
	v_fmamk_f16 v61, v35, 0x388b, v80
	v_add_f16_e32 v1, v60, v1
	v_fmamk_f16 v60, v33, 0xb5ac, v55
	v_mul_f16_sdwa v85, v34, v25 dst_sel:DWORD dst_unused:UNUSED_PAD src0_sel:WORD_1 src1_sel:DWORD
	v_add_f16_e32 v24, v62, v24
	v_lshrrev_b32_e32 v82, 16, v33
	v_mul_f16_e32 v69, 0x3770, v34
	v_fma_f16 v62, v81, 0x388b, -v87
	v_add_f16_e32 v6, v61, v6
	v_add_f16_e32 v25, v60, v57
	v_mul_f16_e32 v88, 0x33a8, v34
	v_mul_f16_sdwa v57, v37, v23 dst_sel:DWORD dst_unused:UNUSED_PAD src0_sel:WORD_1 src1_sel:DWORD
	v_fmamk_f16 v23, v33, 0xbbc4, v85
	v_fma_f16 v64, v82, 0x3b15, -v69
	v_add_f16_e32 v24, v62, v24
	v_lshrrev_b32_e32 v86, 16, v36
	v_mul_f16_e32 v70, 0xba95, v37
	v_fma_f16 v60, v82, 0xbbc4, -v88
	v_add_f16_e32 v6, v23, v6
	v_pk_mul_f16 v23, 0x3b15388b, v28
	v_add_f16_e32 v1, v64, v1
	v_fma_f16 v62, v86, 0x388b, -v70
	v_add_f16_e32 v24, v60, v24
	v_pk_mul_f16 v71, 0x388bb5ac, v29
	v_pk_fma_f16 v60, 0xba95b770, v31, v23 op_sel:[0,0,1] op_sel_hi:[1,1,0]
	v_fmamk_f16 v61, v36, 0xb9fd, v57
	v_add_f16_e32 v1, v62, v1
	v_mul_f16_sdwa v90, v37, v59 dst_sel:DWORD dst_unused:UNUSED_PAD src0_sel:WORD_1 src1_sel:DWORD
	v_pk_fma_f16 v62, 0xbb7bba95, v30, v71 op_sel:[0,0,1] op_sel_hi:[1,1,0]
	v_add_f16_sdwa v59, v10, v60 dst_sel:DWORD dst_unused:UNUSED_PAD src0_sel:DWORD src1_sel:WORD_1
	v_pk_mul_f16 v74, 0x2fb7bbc4, v35
	v_add_f16_e32 v25, v61, v25
	v_fmamk_f16 v65, v36, 0x3b15, v90
	v_mul_f16_sdwa v61, v39, v7 dst_sel:DWORD dst_unused:UNUSED_PAD src0_sel:WORD_1 src1_sel:DWORD
	v_add_f16_sdwa v7, v62, v59 dst_sel:DWORD dst_unused:UNUSED_PAD src0_sel:WORD_1 src1_sel:DWORD
	v_pk_fma_f16 v64, 0xb3a8bbf1, v32, v74 op_sel:[0,0,1] op_sel_hi:[1,1,0]
	v_pk_mul_f16 v93, 0xba95bb7b, v31 op_sel_hi:[1,0]
	v_add_f16_e32 v100, v65, v6
	v_pk_mul_f16 v94, 0xbb7b394e, v30 op_sel_hi:[1,0]
	v_pk_mul_f16 v96, 0xb3a83770, v32 op_sel_hi:[1,0]
	v_add_f16_sdwa v6, v64, v7 dst_sel:DWORD dst_unused:UNUSED_PAD src0_sel:WORD_1 src1_sel:DWORD
	v_pk_fma_f16 v7, 0x388bb5ac, v28, v93 op_sel:[0,1,0] neg_lo:[0,0,1] neg_hi:[0,0,1]
	v_mul_f16_e32 v92, 0x3770, v37
	v_pk_fma_f16 v73, 0xb5acb9fd, v29, v94 op_sel:[0,1,0] neg_lo:[0,0,1] neg_hi:[0,0,1]
	v_pk_fma_f16 v75, 0xbbc43b15, v35, v96 op_sel:[0,1,0] neg_lo:[0,0,1] neg_hi:[0,0,1]
	v_pk_mul_f16 v91, 0x394ebbf1, v34 op_sel_hi:[1,0]
	v_pk_add_f16 v72, v10, v7 op_sel:[1,0]
	v_fma_f16 v66, v86, 0x3b15, -v92
	v_pk_mul_f16 v59, 0xb5acb9fd, v33
	v_pk_mul_f16 v95, 0x3bf133a8, v37 op_sel_hi:[1,0]
	v_pk_fma_f16 v74, 0xb3a8bbf1, v32, v74 op_sel:[0,0,1] op_sel_hi:[1,1,0] neg_lo:[0,1,0] neg_hi:[0,1,0]
	v_pk_add_f16 v73, v73, v72
	v_pk_fma_f16 v72, 0xba95b770, v31, v23 op_sel:[0,0,1] op_sel_hi:[1,1,0] neg_lo:[0,1,0] neg_hi:[0,1,0]
	v_add_f16_e32 v24, v66, v24
	v_pk_fma_f16 v66, 0x394ebb7b, v34, v59 op_sel:[0,0,1] op_sel_hi:[1,1,0]
	v_pk_mul_f16 v76, 0xb9fd2fb7, v36
	v_pk_add_f16 v23, v75, v73
	v_pk_fma_f16 v73, 0xbb7bba95, v30, v71 op_sel:[0,0,1] op_sel_hi:[1,1,0] neg_lo:[0,1,0] neg_hi:[0,1,0]
	v_add_f16_sdwa v71, v10, v72 dst_sel:DWORD dst_unused:UNUSED_PAD src0_sel:WORD_1 src1_sel:DWORD
	v_pk_fma_f16 v75, 0xb9fd2fb7, v33, v91 op_sel:[0,1,0] neg_lo:[0,0,1] neg_hi:[0,0,1]
	v_fmamk_f16 v65, v40, 0xbbc4, v61
	v_pk_fma_f16 v98, 0x2fb7bbc4, v36, v95 op_sel:[0,1,0] neg_lo:[0,0,1] neg_hi:[0,0,1]
	v_add_f16_sdwa v6, v66, v6 dst_sel:DWORD dst_unused:UNUSED_PAD src0_sel:WORD_1 src1_sel:DWORD
	v_add_f16_e32 v71, v73, v71
	v_pk_add_f16 v23, v75, v23
	v_pk_fma_f16 v75, 0x394ebb7b, v34, v59 op_sel:[0,0,1] op_sel_hi:[1,1,0] neg_lo:[0,1,0] neg_hi:[0,1,0]
	v_pk_fma_f16 v68, 0x3bf1b94e, v37, v76 op_sel:[0,0,1] op_sel_hi:[1,1,0]
	v_add_f16_e32 v7, v65, v25
	v_add_f16_e32 v71, v74, v71
	v_pk_mul_f16 v25, 0xbbc43b15, v40
	v_lshrrev_b32_e32 v97, 16, v40
	v_mul_f16_e32 v89, 0xb94e, v39
	v_pk_add_f16 v102, v98, v23
	v_pk_mul_f16 v59, 0x37703a95, v39 op_sel_hi:[1,0]
	v_mul_f16_e32 v98, 0xbb7b, v39
	v_pk_fma_f16 v76, 0x3bf1b94e, v37, v76 op_sel:[0,0,1] op_sel_hi:[1,1,0] neg_lo:[0,1,0] neg_hi:[0,1,0]
	v_add_f16_e32 v23, v75, v71
	v_mul_f16_sdwa v99, v39, v9 dst_sel:DWORD dst_unused:UNUSED_PAD src0_sel:WORD_1 src1_sel:DWORD
	v_add_f16_sdwa v6, v68, v6 dst_sel:DWORD dst_unused:UNUSED_PAD src0_sel:WORD_1 src1_sel:DWORD
	v_pk_fma_f16 v65, 0x3770b3a8, v39, v25 op_sel:[0,0,1] op_sel_hi:[1,1,0]
	v_fma_f16 v101, v97, 0xb9fd, -v89
	v_pk_fma_f16 v9, 0x3b15388b, v40, v59 op_sel:[0,1,0] neg_lo:[0,0,1] neg_hi:[0,0,1]
	v_fma_f16 v103, v97, 0xb5ac, -v98
	v_pk_fma_f16 v71, 0x3770b3a8, v39, v25 op_sel:[0,0,1] op_sel_hi:[1,1,0] neg_lo:[0,1,0] neg_hi:[0,1,0]
	v_add_f16_e32 v104, v76, v23
	v_fmamk_f16 v105, v40, 0xb5ac, v99
	v_add_f16_sdwa v6, v65, v6 dst_sel:DWORD dst_unused:UNUSED_PAD src0_sel:WORD_1 src1_sel:DWORD
	v_add_f16_e32 v23, v101, v1
	v_pk_add_f16 v1, v9, v102
	v_add_f16_e32 v25, v103, v24
	v_add_f16_e32 v24, v71, v104
	;; [unrolled: 1-line block ×3, first 2 shown]
	buffer_gl0_inv
	v_cmpx_gt_u32_e32 0x70, v0
	s_cbranch_execz .LBB0_13
; %bb.12:
	v_mul_f16_e32 v101, 0xb9fd, v58
	v_mul_f16_e32 v105, 0xb9fd, v28
	;; [unrolled: 1-line block ×5, first 2 shown]
	v_add_f16_e32 v83, v83, v101
	v_mul_f16_e32 v101, 0x2fb7, v79
	v_sub_f16_e32 v77, v105, v77
	v_sub_f16_e32 v78, v109, v78
	v_mul_f16_e32 v79, 0xbbc4, v79
	v_add_f16_sdwa v83, v10, v83 dst_sel:DWORD dst_unused:UNUSED_PAD src0_sel:WORD_1 src1_sel:DWORD
	v_add_f16_e32 v84, v84, v101
	v_mul_f16_e32 v101, 0x388b, v81
	v_add_f16_e32 v77, v10, v77
	v_mul_f16_e32 v108, 0xb9fd, v29
	v_sub_f16_e32 v47, v104, v47
	v_add_f16_e32 v83, v84, v83
	v_add_f16_e32 v87, v87, v101
	v_mul_f16_e32 v101, 0xbbc4, v82
	v_add_f16_e32 v77, v78, v77
	v_add_f16_e32 v45, v45, v58
	v_mul_f16_e32 v81, 0xb5ac, v81
	;; [unrolled: 3-line block ×3, first 2 shown]
	v_mul_f16_e32 v87, 0x3b15, v35
	v_sub_f16_e32 v48, v108, v48
	v_add_f16_e32 v47, v10, v47
	v_add_f16_e32 v83, v88, v83
	v_mul_f16_e32 v88, 0x3b15, v86
	v_sub_f16_e32 v80, v101, v80
	v_mul_f16_e32 v101, 0xbbc4, v33
	v_add_f16_sdwa v45, v10, v45 dst_sel:DWORD dst_unused:UNUSED_PAD src0_sel:WORD_1 src1_sel:DWORD
	v_add_f16_e32 v63, v63, v79
	v_add_f16_e32 v88, v92, v88
	;; [unrolled: 1-line block ×3, first 2 shown]
	v_sub_f16_e32 v80, v101, v85
	v_mul_f16_e32 v101, 0x3b15, v36
	v_mul_f16_e32 v82, 0x3b15, v82
	v_add_f16_e32 v83, v88, v83
	v_mul_f16_e32 v88, 0xb5ac, v97
	v_mul_f16_e32 v92, 0x2fb7, v33
	v_add_f16_e32 v77, v80, v77
	v_sub_f16_e32 v90, v101, v90
	v_mul_f16_e32 v101, 0xb5ac, v40
	v_add_f16_e32 v88, v98, v88
	v_add_f16_e32 v47, v48, v47
	v_sub_f16_e32 v48, v87, v49
	v_add_f16_e32 v45, v63, v45
	v_add_f16_e32 v63, v67, v81
	v_mul_f16_e32 v103, 0x2fb7, v28
	v_mul_f16_e32 v86, 0x388b, v86
	;; [unrolled: 1-line block ×3, first 2 shown]
	v_add_f16_e32 v77, v90, v77
	v_sub_f16_e32 v90, v101, v99
	v_pk_mul_f16 v101, 0x388bb5ac, v28 op_sel:[0,1]
	v_add_f16_e32 v83, v88, v83
	v_pk_mul_f16 v88, 0xb5acb9fd, v29 op_sel:[0,1]
	v_add_f16_e32 v47, v48, v47
	v_sub_f16_e32 v48, v92, v51
	v_add_f16_e32 v45, v63, v45
	v_add_f16_e32 v63, v69, v82
	v_mul_f16_e32 v107, 0xbbc4, v29
	v_pk_add_f16 v93, v93, v101
	v_mul_f16_e32 v97, 0xb9fd, v97
	v_pk_add_f16 v88, v94, v88
	v_mul_f16_e32 v94, 0x388b, v40
	v_add_f16_e32 v47, v48, v47
	v_sub_f16_e32 v48, v98, v53
	v_sub_f16_e32 v41, v103, v41
	v_add_f16_e32 v45, v63, v45
	v_add_f16_e32 v53, v70, v86
	v_pk_add_f16 v11, v10, v11
	v_alignbit_b32 v100, v10, v10, 16
	v_mul_f16_e32 v105, 0xb5ac, v35
	v_add_f16_e32 v77, v90, v77
	v_pk_mul_f16 v90, 0xbbc43b15, v35 op_sel:[0,1]
	v_add_f16_e32 v47, v48, v47
	v_sub_f16_e32 v48, v94, v56
	v_add_f16_e32 v41, v10, v41
	v_sub_f16_e32 v42, v107, v42
	v_add_f16_e32 v45, v53, v45
	v_add_f16_e32 v53, v89, v97
	v_alignbit_b32 v56, s0, v93, 16
	v_pk_add_f16 v11, v11, v14
	v_mul_f16_e32 v102, 0x3b15, v28
	v_mul_f16_e32 v78, 0x3b15, v33
	v_pk_add_f16 v90, v96, v90
	v_pk_mul_f16 v104, 0xb9fd2fb7, v33 op_sel:[0,1]
	v_add_f16_e32 v47, v48, v47
	v_add_f16_e32 v41, v42, v41
	v_sub_f16_e32 v42, v105, v44
	v_add_f16_e32 v44, v53, v45
	v_pk_add_f16 v45, v100, v56
	v_alignbit_b32 v48, s0, v88, 16
	v_pk_add_f16 v11, v11, v15
	v_mul_f16_e32 v106, 0x388b, v29
	v_pk_mul_f16 v108, 0x2fb7bbc4, v36 op_sel:[0,1]
	v_pk_add_f16 v91, v91, v104
	v_add_f16_e32 v41, v42, v41
	v_sub_f16_e32 v42, v78, v43
	v_sub_f16_e32 v38, v102, v38
	v_pk_add_f16 v43, v48, v45
	v_alignbit_b32 v14, s0, v90, 16
	v_pk_add_f16 v11, v11, v20
	v_mul_f16_e32 v84, 0x2fb7, v35
	v_pk_add_f16 v49, v95, v108
	v_add_f16_e32 v41, v42, v41
	v_add_f16_e32 v38, v10, v38
	v_sub_f16_e32 v42, v106, v52
	v_pk_add_f16 v14, v14, v43
	v_alignbit_b32 v15, s0, v91, 16
	v_pk_add_f16 v11, v11, v21
	v_mul_f16_e32 v109, 0xb5ac, v33
	v_add_f16_e32 v38, v42, v38
	v_sub_f16_e32 v20, v84, v54
	v_pk_add_f16 v14, v15, v14
	v_alignbit_b32 v15, s0, v49, 16
	v_pk_add_f16 v11, v11, v18
	v_mul_f16_e32 v85, 0xb9fd, v36
	v_add_f16_e32 v20, v20, v38
	v_sub_f16_e32 v21, v109, v55
	v_pk_add_f16 v14, v15, v14
	v_bfi_b32 v15, 0xffff, v60, v72
	v_pk_add_f16 v11, v11, v19
	v_mul_f16_e32 v99, 0xbbc4, v40
	v_bfi_b32 v18, 0xffff, v62, v73
	v_add_f16_e32 v20, v21, v20
	v_sub_f16_e32 v21, v85, v57
	v_pk_add_f16 v11, v11, v16
	v_pk_add_f16 v15, v100, v15
	v_pk_mul_f16 v16, 0xb3a8, v31 op_sel_hi:[0,1]
	v_bfi_b32 v38, 0xffff, v64, v74
	v_add_f16_e32 v20, v21, v20
	v_sub_f16_e32 v21, v99, v61
	v_pk_add_f16 v11, v11, v17
	v_pk_add_f16 v15, v18, v15
	v_pk_fma_f16 v17, 0xbbc4, v28, v16 op_sel:[0,0,1] op_sel_hi:[0,1,0] neg_lo:[0,0,1] neg_hi:[0,0,1]
	v_pk_fma_f16 v16, 0xbbc4, v28, v16 op_sel:[0,0,1] op_sel_hi:[0,1,0]
	v_pk_mul_f16 v18, 0x3770, v30 op_sel_hi:[0,1]
	v_bfi_b32 v19, 0xffff, v66, v75
	v_add_f16_e32 v21, v21, v20
	v_pk_add_f16 v11, v11, v12
	v_pk_add_f16 v12, v38, v15
	v_bfi_b32 v15, 0xffff, v17, v16
	v_pk_fma_f16 v20, 0x3b15, v29, v18 op_sel:[0,0,1] op_sel_hi:[0,1,0] neg_lo:[0,0,1] neg_hi:[0,0,1]
	v_pk_fma_f16 v18, 0x3b15, v29, v18 op_sel:[0,0,1] op_sel_hi:[0,1,0]
	v_pk_mul_f16 v29, 0xb94e, v32 op_sel_hi:[0,1]
	v_pk_add_f16 v11, v11, v13
	v_pk_add_f16 v12, v19, v12
	;; [unrolled: 1-line block ×3, first 2 shown]
	v_bfi_b32 v15, 0xffff, v20, v18
	v_pk_fma_f16 v19, 0xb9fd, v35, v29 op_sel:[0,0,1] op_sel_hi:[0,1,0] neg_lo:[0,0,1] neg_hi:[0,0,1]
	v_pk_fma_f16 v29, 0xb9fd, v35, v29 op_sel:[0,0,1] op_sel_hi:[0,1,0]
	v_bfi_b32 v16, 0xffff, v16, v17
	v_add_f16_e32 v96, v100, v93
	v_pk_mul_f16 v17, 0x3a95, v34 op_sel_hi:[0,1]
	v_pk_add_f16 v13, v15, v13
	v_bfi_b32 v15, 0xffff, v19, v29
	v_pk_add_f16 v10, v10, v16
	v_bfi_b32 v16, 0xffff, v18, v20
	v_add_f16_e32 v96, v88, v96
	v_pk_fma_f16 v18, 0x388b, v33, v17 op_sel:[0,0,1] op_sel_hi:[0,1,0] neg_lo:[0,0,1] neg_hi:[0,0,1]
	v_pk_fma_f16 v17, 0x388b, v33, v17 op_sel:[0,0,1] op_sel_hi:[0,1,0]
	v_pk_mul_f16 v20, 0xbb7b, v37 op_sel_hi:[0,1]
	v_pk_add_f16 v13, v15, v13
	v_pk_add_f16 v10, v16, v10
	v_bfi_b32 v15, 0xffff, v29, v19
	v_mul_f16_e32 v80, 0x388b, v36
	v_add_f16_e32 v96, v90, v96
	v_bfi_b32 v16, 0xffff, v18, v17
	v_pk_fma_f16 v19, 0xb5ac, v36, v20 op_sel:[0,0,1] op_sel_hi:[0,1,0] neg_lo:[0,0,1] neg_hi:[0,0,1]
	v_pk_fma_f16 v20, 0xb5ac, v36, v20 op_sel:[0,0,1] op_sel_hi:[0,1,0]
	v_pk_mul_f16 v29, 0x3bf1, v39 op_sel_hi:[0,1]
	v_pk_add_f16 v10, v15, v10
	v_bfi_b32 v15, 0xffff, v17, v18
	v_mul_f16_e32 v101, 0xb9fd, v40
	v_pk_mul_f16 v58, 0x3b15388b, v40 op_sel:[0,1]
	v_add_f16_e32 v79, v91, v96
	v_sub_f16_e32 v43, v80, v46
	v_pk_add_f16 v13, v16, v13
	v_bfi_b32 v16, 0xffff, v19, v20
	v_pk_fma_f16 v17, 0x2fb7, v40, v29 op_sel:[0,0,1] op_sel_hi:[0,1,0] neg_lo:[0,0,1] neg_hi:[0,0,1]
	v_pk_fma_f16 v18, 0x2fb7, v40, v29 op_sel:[0,0,1] op_sel_hi:[0,1,0]
	v_pk_add_f16 v10, v15, v10
	v_bfi_b32 v15, 0xffff, v20, v19
	v_add_f16_e32 v51, v49, v79
	v_add_f16_e32 v67, v59, v58
	v_sub_f16_e32 v42, v101, v50
	v_bfi_b32 v45, 0xffff, v68, v76
	v_alignbit_b32 v19, v43, v59, 16
	v_alignbit_b32 v20, v41, v58, 16
	v_pk_add_f16 v13, v16, v13
	v_bfi_b32 v16, 0xffff, v17, v18
	v_pk_add_f16 v10, v15, v10
	v_bfi_b32 v15, 0xffff, v18, v17
	v_add_f16_e32 v51, v67, v51
	v_bfi_b32 v31, 0xffff, v65, v71
	v_pk_add_f16 v12, v45, v12
	v_pk_add_f16 v17, v19, v20
	v_pack_b32_f16 v14, v14, v42
	v_pk_add_f16 v18, v16, v13
	v_pk_add_f16 v16, v15, v10
	v_mad_u32_u24 v28, v0, 48, v22
	v_pk_add_f16 v27, v11, v27
	v_pk_add_f16 v10, v31, v12
	;; [unrolled: 1-line block ×3, first 2 shown]
	v_pack_b32_f16 v12, v44, v47
	v_pack_b32_f16 v13, v51, v77
	v_alignbit_b32 v15, v16, v18, 16
	v_alignbit_b32 v16, v9, v16, 16
	v_pack_b32_f16 v14, v83, v18
	v_perm_b32 v17, v4, v25, 0x5040100
	v_perm_b32 v19, v6, v23, 0x5040100
	;; [unrolled: 1-line block ×3, first 2 shown]
	v_alignbit_b32 v20, v7, v1, 16
	ds_write_b32 v28, v27
	ds_write_b16 v28, v21 offset:4
	ds_write_b128 v28, v[10:13] offset:6
	ds_write_b128 v28, v[14:17] offset:22
	ds_write_b96 v28, v[18:20] offset:38
	ds_write_b16 v28, v24 offset:50
.LBB0_13:
	s_or_b32 exec_lo, exec_lo, s1
	v_and_b32_e32 v10, 0xff, v0
	v_add_nc_u32_e32 v16, 0xb6, v0
	v_mov_b32_e32 v11, 3
	s_waitcnt lgkmcnt(0)
	s_barrier
	v_mul_lo_u16 v27, 0x4f, v10
	v_mov_b32_e32 v10, 0x4ec5
	buffer_gl0_inv
	v_add_nc_u32_e32 v21, 0x500, v22
	v_add_nc_u32_e32 v37, 0xd00, v22
	v_lshrrev_b16 v17, 10, v27
	v_mul_u32_u24_sdwa v18, v16, v10 dst_sel:DWORD dst_unused:UNUSED_PAD src0_sel:WORD_0 src1_sel:DWORD
	v_cmp_gt_u32_e64 s0, 26, v0
	v_mul_lo_u16 v10, v17, 13
	v_lshrrev_b32_e32 v34, 18, v18
	v_sub_nc_u16 v35, v0, v10
	v_mul_lo_u16 v10, v34, 13
	v_mul_u32_u24_sdwa v12, v35, v11 dst_sel:DWORD dst_unused:UNUSED_PAD src0_sel:BYTE_0 src1_sel:DWORD
	v_sub_nc_u16 v36, v16, v10
	v_lshlrev_b32_e32 v10, 2, v12
	v_mul_u32_u24_sdwa v13, v36, v11 dst_sel:DWORD dst_unused:UNUSED_PAD src0_sel:WORD_0 src1_sel:DWORD
	global_load_dwordx3 v[10:12], v10, s[8:9]
	v_lshlrev_b32_e32 v13, 2, v13
	global_load_dwordx3 v[13:15], v13, s[8:9]
	ds_read2_b32 v[19:20], v8 offset0:68 offset1:250
	ds_read2_b32 v[28:29], v22 offset1:182
	v_add_nc_u32_e32 v8, 0xb00, v22
	ds_read2_b32 v[30:31], v21 offset0:44 offset1:226
	ds_read2_b32 v[32:33], v8 offset0:24 offset1:206
	v_mov_b32_e32 v8, 0xd0
	v_mov_b32_e32 v21, 2
	s_waitcnt vmcnt(0) lgkmcnt(0)
	s_barrier
	buffer_gl0_inv
	v_mul_u32_u24_sdwa v8, v17, v8 dst_sel:DWORD dst_unused:UNUSED_PAD src0_sel:WORD_0 src1_sel:DWORD
	v_mul_u32_u24_e32 v17, 0xd0, v34
	v_lshlrev_b32_sdwa v35, v21, v35 dst_sel:DWORD dst_unused:UNUSED_PAD src0_sel:DWORD src1_sel:BYTE_0
	v_lshlrev_b32_sdwa v36, v21, v36 dst_sel:DWORD dst_unused:UNUSED_PAD src0_sel:DWORD src1_sel:WORD_0
	v_add3_u32 v35, 0, v8, v35
	v_lshrrev_b32_e32 v34, 16, v19
	v_lshrrev_b32_e32 v38, 16, v20
	v_add3_u32 v36, 0, v17, v36
	v_lshrrev_b32_e32 v39, 16, v28
	v_lshrrev_b32_e32 v40, 16, v29
	v_lshrrev_b32_e32 v41, 16, v30
	v_lshrrev_b32_e32 v42, 16, v32
	v_lshrrev_b32_e32 v43, 16, v31
	v_lshrrev_b32_e32 v44, 16, v33
	v_mul_f16_sdwa v8, v10, v41 dst_sel:DWORD dst_unused:UNUSED_PAD src0_sel:WORD_1 src1_sel:DWORD
	v_mul_f16_sdwa v17, v10, v30 dst_sel:DWORD dst_unused:UNUSED_PAD src0_sel:WORD_1 src1_sel:DWORD
	;; [unrolled: 1-line block ×12, first 2 shown]
	v_fma_f16 v8, v10, v30, -v8
	v_fmac_f16_e32 v17, v10, v41
	v_fma_f16 v10, v11, v32, -v45
	v_fmac_f16_e32 v46, v11, v42
	;; [unrolled: 2-line block ×6, first 2 shown]
	v_sub_f16_e32 v10, v28, v10
	v_sub_f16_e32 v15, v39, v46
	;; [unrolled: 1-line block ×8, first 2 shown]
	v_fma_f16 v28, v28, 2.0, -v10
	v_fma_f16 v31, v39, 2.0, -v15
	;; [unrolled: 1-line block ×8, first 2 shown]
	v_sub_f16_e32 v19, v10, v19
	v_add_f16_e32 v11, v15, v11
	v_sub_f16_e32 v8, v13, v30
	v_add_f16_e32 v17, v20, v14
	v_sub_f16_e32 v14, v28, v32
	v_sub_f16_e32 v30, v31, v33
	;; [unrolled: 1-line block ×4, first 2 shown]
	v_fma_f16 v10, v10, 2.0, -v19
	v_fma_f16 v15, v15, 2.0, -v11
	;; [unrolled: 1-line block ×8, first 2 shown]
	v_pack_b32_f16 v11, v19, v11
	v_pack_b32_f16 v14, v14, v30
	;; [unrolled: 1-line block ×8, first 2 shown]
	ds_write2_b32 v35, v14, v11 offset0:26 offset1:39
	ds_write2_b32 v35, v15, v10 offset1:13
	ds_write2_b32 v36, v20, v13 offset1:13
	ds_write2_b32 v36, v12, v19 offset0:26 offset1:39
	s_waitcnt lgkmcnt(0)
	s_barrier
	buffer_gl0_inv
	ds_read2_b32 v[10:11], v22 offset1:208
	ds_read2_b32 v[14:15], v26 offset0:32 offset1:240
	ds_read2_b32 v[12:13], v37 offset1:208
	ds_read_b32 v26, v22 offset:4992
                                        ; implicit-def: $vgpr20
                                        ; implicit-def: $vgpr19
	s_and_saveexec_b32 s1, s0
	s_cbranch_execz .LBB0_15
; %bb.14:
	v_add_nc_u32_e32 v1, 0xf80, v22
	v_add_nc_u32_e32 v4, 0x900, v22
	ds_read2_b32 v[6:7], v1 offset0:22 offset1:230
	v_add_nc_u32_e32 v1, 0x280, v22
	ds_read2_b32 v[8:9], v1 offset0:22 offset1:230
	ds_read2_b32 v[4:5], v4 offset0:22 offset1:230
	ds_read_b32 v19, v22 offset:5720
	s_waitcnt lgkmcnt(3)
	v_mov_b32_e32 v1, v6
	v_lshrrev_b32_e32 v24, 16, v7
	s_waitcnt lgkmcnt(2)
	v_lshrrev_b32_e32 v17, 16, v8
	ds_read_u16_d16 v1, v22 offset:2394
	s_waitcnt lgkmcnt(2)
	v_lshrrev_b32_e32 v23, 16, v5
	s_waitcnt lgkmcnt(1)
	v_lshrrev_b32_e32 v20, 16, v19
	v_lshrrev_b32_e32 v25, 16, v9
.LBB0_15:
	s_or_b32 exec_lo, exec_lo, s1
	v_lshrrev_b16 v33, 12, v27
	v_mov_b32_e32 v28, 6
	v_mov_b32_e32 v35, 0x5b0
	s_waitcnt lgkmcnt(0)
	v_lshrrev_b32_e32 v38, 16, v26
	v_lshrrev_b32_e32 v36, 16, v15
	v_mul_lo_u16 v27, v33, 52
	v_lshrrev_b32_e32 v37, 16, v12
	v_mul_u32_u24_sdwa v33, v33, v35 dst_sel:DWORD dst_unused:UNUSED_PAD src0_sel:WORD_0 src1_sel:DWORD
	v_lshrrev_b32_e32 v35, 16, v14
	v_sub_nc_u16 v34, v0, v27
	v_mul_u32_u24_sdwa v27, v34, v28 dst_sel:DWORD dst_unused:UNUSED_PAD src0_sel:BYTE_0 src1_sel:DWORD
	v_lshlrev_b32_sdwa v21, v21, v34 dst_sel:DWORD dst_unused:UNUSED_PAD src0_sel:DWORD src1_sel:BYTE_0
	v_lshrrev_b32_e32 v34, 16, v11
	v_lshlrev_b32_e32 v31, 2, v27
	v_add3_u32 v21, 0, v33, v21
	v_lshrrev_b32_e32 v33, 16, v13
	s_clause 0x1
	global_load_dwordx4 v[27:30], v31, s[8:9] offset:156
	global_load_dwordx2 v[31:32], v31, s[8:9] offset:172
	v_add_nc_u32_e32 v39, 0x200, v21
	s_waitcnt vmcnt(0)
	s_barrier
	buffer_gl0_inv
	v_mul_f16_sdwa v40, v27, v34 dst_sel:DWORD dst_unused:UNUSED_PAD src0_sel:WORD_1 src1_sel:DWORD
	v_mul_f16_sdwa v41, v27, v11 dst_sel:DWORD dst_unused:UNUSED_PAD src0_sel:WORD_1 src1_sel:DWORD
	;; [unrolled: 1-line block ×12, first 2 shown]
	v_fma_f16 v11, v27, v11, -v40
	v_fmac_f16_e32 v41, v27, v34
	v_fma_f16 v14, v28, v14, -v42
	v_fmac_f16_e32 v43, v28, v35
	;; [unrolled: 2-line block ×6, first 2 shown]
	v_add_f16_e32 v27, v11, v26
	v_add_f16_e32 v28, v41, v51
	v_add_f16_e32 v29, v14, v13
	v_add_f16_e32 v30, v43, v49
	v_sub_f16_e32 v11, v11, v26
	v_sub_f16_e32 v26, v41, v51
	;; [unrolled: 1-line block ×4, first 2 shown]
	v_add_f16_e32 v31, v15, v12
	v_add_f16_e32 v32, v45, v47
	v_sub_f16_e32 v12, v12, v15
	v_sub_f16_e32 v15, v47, v45
	v_add_f16_e32 v33, v29, v27
	v_add_f16_e32 v34, v30, v28
	v_sub_f16_e32 v35, v29, v27
	v_sub_f16_e32 v36, v30, v28
	;; [unrolled: 1-line block ×6, first 2 shown]
	v_add_f16_e32 v37, v12, v13
	v_add_f16_e32 v38, v15, v14
	v_sub_f16_e32 v40, v12, v13
	v_sub_f16_e32 v41, v15, v14
	;; [unrolled: 1-line block ×4, first 2 shown]
	v_add_f16_e32 v31, v31, v33
	v_add_f16_e32 v32, v32, v34
	v_sub_f16_e32 v12, v11, v12
	v_sub_f16_e32 v15, v26, v15
	v_add_f16_e32 v11, v37, v11
	v_add_f16_e32 v26, v38, v26
	v_mul_f16_e32 v27, 0x3a52, v27
	v_mul_f16_e32 v28, 0x3a52, v28
	;; [unrolled: 1-line block ×8, first 2 shown]
	v_add_f16_e32 v42, v31, v10
	v_add_f16_sdwa v10, v32, v10 dst_sel:DWORD dst_unused:UNUSED_PAD src0_sel:DWORD src1_sel:WORD_1
	v_fmamk_f16 v29, v29, 0x2b26, v27
	v_fmamk_f16 v30, v30, 0x2b26, v28
	v_fma_f16 v33, v35, 0x39e0, -v33
	v_fma_f16 v34, v36, 0x39e0, -v34
	;; [unrolled: 1-line block ×4, first 2 shown]
	v_fmamk_f16 v35, v12, 0x3574, v37
	v_fmamk_f16 v36, v15, 0x3574, v38
	v_fma_f16 v13, v13, 0x3b00, -v37
	v_fma_f16 v14, v14, 0x3b00, -v38
	;; [unrolled: 1-line block ×4, first 2 shown]
	v_fmamk_f16 v31, v31, 0xbcab, v42
	v_fmamk_f16 v32, v32, 0xbcab, v10
	v_fmac_f16_e32 v35, 0x370e, v11
	v_fmac_f16_e32 v36, 0x370e, v26
	;; [unrolled: 1-line block ×6, first 2 shown]
	v_add_f16_e32 v11, v29, v31
	v_add_f16_e32 v26, v30, v32
	;; [unrolled: 1-line block ×7, first 2 shown]
	v_sub_f16_e32 v32, v26, v35
	v_add_f16_e32 v33, v15, v27
	v_sub_f16_e32 v34, v28, v12
	v_sub_f16_e32 v37, v29, v14
	v_add_f16_e32 v38, v13, v30
	v_add_f16_e32 v14, v14, v29
	v_sub_f16_e32 v13, v30, v13
	v_sub_f16_e32 v15, v27, v15
	v_add_f16_e32 v12, v12, v28
	v_sub_f16_e32 v11, v11, v36
	v_add_f16_e32 v26, v35, v26
	v_pack_b32_f16 v10, v42, v10
	v_pack_b32_f16 v27, v31, v32
	;; [unrolled: 1-line block ×7, first 2 shown]
	ds_write2_b32 v21, v10, v27 offset1:52
	ds_write2_b32 v21, v28, v29 offset0:104 offset1:156
	ds_write2_b32 v39, v13, v12 offset0:80 offset1:132
	ds_write_b32 v21, v11 offset:1248
	s_and_saveexec_b32 s1, s0
	s_cbranch_execz .LBB0_17
; %bb.16:
	v_lshrrev_b32_e32 v10, 20, v18
	v_lshrrev_b32_e32 v18, 16, v1
	v_mul_lo_u16 v10, v10, 52
	v_sub_nc_u16 v10, v16, v10
	v_and_b32_e32 v16, 0xffff, v10
	v_mul_u32_u24_e32 v10, 6, v16
	v_lshl_add_u32 v16, v16, 2, 0
	v_lshlrev_b32_e32 v14, 2, v10
	v_add_nc_u32_e32 v21, 0x1000, v16
	v_add_nc_u32_e32 v26, 0x1400, v16
	s_clause 0x1
	global_load_dwordx4 v[10:13], v14, s[8:9] offset:156
	global_load_dwordx2 v[14:15], v14, s[8:9] offset:172
	s_waitcnt vmcnt(1)
	v_mul_f16_sdwa v27, v25, v10 dst_sel:DWORD dst_unused:UNUSED_PAD src0_sel:DWORD src1_sel:WORD_1
	s_waitcnt vmcnt(0)
	v_mul_f16_sdwa v28, v20, v15 dst_sel:DWORD dst_unused:UNUSED_PAD src0_sel:DWORD src1_sel:WORD_1
	v_mul_f16_sdwa v31, v1, v11 dst_sel:DWORD dst_unused:UNUSED_PAD src0_sel:DWORD src1_sel:WORD_1
	v_mul_f16_sdwa v32, v24, v14 dst_sel:DWORD dst_unused:UNUSED_PAD src0_sel:DWORD src1_sel:WORD_1
	v_mul_f16_sdwa v33, v19, v15 dst_sel:DWORD dst_unused:UNUSED_PAD src0_sel:DWORD src1_sel:WORD_1
	v_mul_f16_sdwa v34, v9, v10 dst_sel:DWORD dst_unused:UNUSED_PAD src0_sel:DWORD src1_sel:WORD_1
	v_mul_f16_sdwa v37, v7, v14 dst_sel:DWORD dst_unused:UNUSED_PAD src0_sel:DWORD src1_sel:WORD_1
	v_mul_f16_sdwa v38, v4, v11 dst_sel:DWORD dst_unused:UNUSED_PAD src0_sel:DWORD src1_sel:WORD_1
	v_mul_f16_sdwa v29, v18, v13 dst_sel:DWORD dst_unused:UNUSED_PAD src0_sel:DWORD src1_sel:WORD_1
	v_mul_f16_sdwa v30, v23, v12 dst_sel:DWORD dst_unused:UNUSED_PAD src0_sel:DWORD src1_sel:WORD_1
	v_mul_f16_sdwa v35, v5, v12 dst_sel:DWORD dst_unused:UNUSED_PAD src0_sel:DWORD src1_sel:WORD_1
	v_mul_f16_sdwa v36, v6, v13 dst_sel:DWORD dst_unused:UNUSED_PAD src0_sel:DWORD src1_sel:WORD_1
	v_fma_f16 v9, v9, v10, -v27
	v_fma_f16 v19, v19, v15, -v28
	;; [unrolled: 1-line block ×4, first 2 shown]
	v_fmac_f16_e32 v33, v20, v15
	v_fmac_f16_e32 v34, v25, v10
	;; [unrolled: 1-line block ×4, first 2 shown]
	v_fma_f16 v6, v6, v13, -v29
	v_fma_f16 v5, v5, v12, -v30
	v_fmac_f16_e32 v35, v23, v12
	v_fmac_f16_e32 v36, v18, v13
	v_sub_f16_e32 v1, v9, v19
	v_sub_f16_e32 v11, v4, v7
	v_add_f16_e32 v12, v34, v33
	v_add_f16_e32 v14, v38, v37
	;; [unrolled: 1-line block ×4, first 2 shown]
	v_sub_f16_e32 v10, v6, v5
	v_add_f16_e32 v13, v35, v36
	v_add_f16_e32 v5, v5, v6
	v_sub_f16_e32 v6, v34, v33
	v_sub_f16_e32 v7, v36, v35
	v_sub_f16_e32 v15, v38, v37
	v_add_f16_e32 v24, v14, v12
	v_add_f16_e32 v28, v4, v9
	v_sub_f16_e32 v18, v1, v10
	v_sub_f16_e32 v19, v10, v11
	v_add_f16_e32 v10, v10, v11
	v_sub_f16_e32 v20, v12, v13
	v_sub_f16_e32 v23, v13, v14
	;; [unrolled: 1-line block ×6, first 2 shown]
	v_add_f16_e32 v7, v7, v15
	v_sub_f16_e32 v11, v11, v1
	v_sub_f16_e32 v4, v4, v9
	;; [unrolled: 1-line block ×3, first 2 shown]
	v_add_f16_e32 v13, v13, v24
	v_add_f16_e32 v5, v5, v28
	v_sub_f16_e32 v12, v14, v12
	v_mul_f16_e32 v14, 0xb846, v19
	v_add_f16_e32 v1, v10, v1
	v_mul_f16_e32 v10, 0x3a52, v20
	v_mul_f16_e32 v19, 0x3a52, v25
	v_mul_f16_e32 v24, 0xb846, v30
	v_add_f16_e32 v6, v7, v6
	v_mul_f16_e32 v7, 0x3b00, v11
	v_mul_f16_e32 v25, 0x3b00, v9
	v_add_f16_e32 v17, v17, v13
	v_add_f16_e32 v8, v8, v5
	v_mul_f16_e32 v15, 0x2b26, v23
	v_mul_f16_e32 v20, 0x2b26, v27
	v_fmamk_f16 v28, v18, 0x3574, v14
	v_fmamk_f16 v23, v23, 0x2b26, v10
	;; [unrolled: 1-line block ×4, first 2 shown]
	v_fma_f16 v7, v18, 0xb574, -v7
	v_fma_f16 v18, v4, 0xb9e0, -v19
	;; [unrolled: 1-line block ×5, first 2 shown]
	v_fmamk_f16 v13, v13, 0xbcab, v17
	v_fmamk_f16 v5, v5, 0xbcab, v8
	v_fma_f16 v10, v12, 0xb9e0, -v10
	v_fma_f16 v12, v12, 0x39e0, -v15
	;; [unrolled: 1-line block ×3, first 2 shown]
	v_fmac_f16_e32 v28, 0x370e, v1
	v_fmac_f16_e32 v30, 0x370e, v6
	;; [unrolled: 1-line block ×6, first 2 shown]
	v_pack_b32_f16 v1, v8, v17
	v_add_f16_e32 v6, v23, v13
	v_add_f16_e32 v8, v27, v5
	;; [unrolled: 1-line block ×7, first 2 shown]
	v_sub_f16_e32 v13, v8, v30
	v_sub_f16_e32 v6, v6, v28
	v_add_f16_e32 v8, v30, v8
	v_add_f16_e32 v15, v7, v10
	v_sub_f16_e32 v17, v12, v11
	v_add_f16_e32 v11, v11, v12
	v_sub_f16_e32 v7, v10, v7
	;; [unrolled: 2-line block ×4, first 2 shown]
	v_pack_b32_f16 v6, v8, v6
	v_pack_b32_f16 v7, v10, v7
	v_pack_b32_f16 v8, v12, v11
	v_pack_b32_f16 v4, v4, v17
	v_pack_b32_f16 v9, v9, v15
	v_pack_b32_f16 v5, v13, v5
	ds_write2_b32 v21, v1, v6 offset0:68 offset1:120
	ds_write2_b32 v21, v7, v8 offset0:172 offset1:224
	;; [unrolled: 1-line block ×3, first 2 shown]
	ds_write_b32 v16, v5 offset:5616
.LBB0_17:
	s_or_b32 exec_lo, exec_lo, s1
	v_mov_b32_e32 v1, 0
	s_waitcnt lgkmcnt(0)
	s_barrier
	buffer_gl0_inv
	v_add_nc_u32_e32 v19, 0xb00, v22
	v_lshlrev_b64 v[4:5], 2, v[0:1]
	v_add_nc_u32_e32 v20, 0x1000, v22
	v_add_nc_u32_e32 v21, 0x500, v22
	s_add_u32 s1, s8, 0x168c
	s_addc_u32 s4, s9, 0
	s_mov_b32 s5, exec_lo
	v_add_co_u32 v6, s0, s8, v4
	v_add_co_ci_u32_e64 v7, s0, s9, v5, s0
	v_add_co_u32 v8, s0, 0x800, v6
	v_add_co_ci_u32_e64 v9, s0, 0, v7, s0
	s_clause 0x1
	global_load_dword v1, v[6:7], off offset:1404
	global_load_dword v18, v[8:9], off offset:84
	ds_read2_b32 v[10:11], v19 offset0:24 offset1:206
	ds_read2_b32 v[12:13], v20 offset0:68 offset1:250
	ds_read2_b32 v[14:15], v22 offset1:182
	ds_read2_b32 v[16:17], v21 offset0:44 offset1:226
	v_add_co_u32 v6, s0, 0x1000, v6
	v_add_co_ci_u32_e64 v7, s0, 0, v7, s0
	s_waitcnt vmcnt(0) lgkmcnt(0)
	s_barrier
	buffer_gl0_inv
	v_pk_mul_f16 v23, v1, v10 op_sel:[0,1]
	v_pk_mul_f16 v24, v1, v12 op_sel:[0,1]
	;; [unrolled: 1-line block ×3, first 2 shown]
	v_pk_fma_f16 v25, v1, v10, v23 op_sel:[0,0,1] op_sel_hi:[1,1,0] neg_lo:[0,0,1] neg_hi:[0,0,1]
	v_pk_fma_f16 v10, v1, v10, v23 op_sel:[0,0,1] op_sel_hi:[1,0,0]
	v_pk_mul_f16 v23, v18, v13 op_sel:[0,1]
	v_pk_fma_f16 v27, v1, v12, v24 op_sel:[0,0,1] op_sel_hi:[1,1,0] neg_lo:[0,0,1] neg_hi:[0,0,1]
	v_pk_fma_f16 v1, v1, v12, v24 op_sel:[0,0,1] op_sel_hi:[1,0,0]
	v_pk_fma_f16 v12, v18, v11, v26 op_sel:[0,0,1] op_sel_hi:[1,1,0] neg_lo:[0,0,1] neg_hi:[0,0,1]
	v_pk_fma_f16 v11, v18, v11, v26 op_sel:[0,0,1] op_sel_hi:[1,0,0]
	;; [unrolled: 2-line block ×3, first 2 shown]
	v_bfi_b32 v10, 0xffff, v25, v10
	v_bfi_b32 v1, 0xffff, v27, v1
	;; [unrolled: 1-line block ×4, first 2 shown]
	v_pk_add_f16 v10, v14, v10 neg_lo:[0,1] neg_hi:[0,1]
	v_pk_add_f16 v1, v16, v1 neg_lo:[0,1] neg_hi:[0,1]
	;; [unrolled: 1-line block ×4, first 2 shown]
	v_pk_fma_f16 v13, v14, 2.0, v10 op_sel_hi:[1,0,1] neg_lo:[0,0,1] neg_hi:[0,0,1]
	v_pk_fma_f16 v14, v16, 2.0, v1 op_sel_hi:[1,0,1] neg_lo:[0,0,1] neg_hi:[0,0,1]
	;; [unrolled: 1-line block ×4, first 2 shown]
	ds_write2_b32 v21, v10, v11 offset0:44 offset1:226
	ds_write2_b32 v20, v1, v12 offset0:68 offset1:250
	ds_write2_b32 v22, v13, v15 offset1:182
	ds_write2_b32 v19, v14, v16 offset0:24 offset1:206
	s_waitcnt lgkmcnt(0)
	s_barrier
	buffer_gl0_inv
	s_clause 0x3
	global_load_dword v1, v[8:9], off offset:812
	global_load_dword v14, v[8:9], off offset:1540
	;; [unrolled: 1-line block ×4, first 2 shown]
	ds_read2_b32 v[6:7], v19 offset0:24 offset1:206
	ds_read2_b32 v[8:9], v20 offset0:68 offset1:250
	ds_read2_b32 v[10:11], v22 offset1:182
	ds_read2_b32 v[12:13], v21 offset0:44 offset1:226
	s_waitcnt vmcnt(0) lgkmcnt(0)
	s_barrier
	buffer_gl0_inv
	v_pk_mul_f16 v17, v1, v6 op_sel:[0,1]
	v_pk_mul_f16 v18, v14, v7 op_sel:[0,1]
	;; [unrolled: 1-line block ×4, first 2 shown]
	v_pk_fma_f16 v25, v1, v6, v17 op_sel:[0,0,1] op_sel_hi:[1,1,0] neg_lo:[0,0,1] neg_hi:[0,0,1]
	v_pk_fma_f16 v1, v1, v6, v17 op_sel:[0,0,1] op_sel_hi:[1,0,0]
	v_pk_fma_f16 v6, v14, v7, v18 op_sel:[0,0,1] op_sel_hi:[1,1,0] neg_lo:[0,0,1] neg_hi:[0,0,1]
	v_pk_fma_f16 v7, v14, v7, v18 op_sel:[0,0,1] op_sel_hi:[1,0,0]
	;; [unrolled: 2-line block ×4, first 2 shown]
	v_bfi_b32 v1, 0xffff, v25, v1
	v_bfi_b32 v6, 0xffff, v6, v7
	;; [unrolled: 1-line block ×4, first 2 shown]
	v_pk_add_f16 v1, v10, v1 neg_lo:[0,1] neg_hi:[0,1]
	v_pk_add_f16 v6, v11, v6 neg_lo:[0,1] neg_hi:[0,1]
	;; [unrolled: 1-line block ×4, first 2 shown]
	v_pk_fma_f16 v9, v10, 2.0, v1 op_sel_hi:[1,0,1] neg_lo:[0,0,1] neg_hi:[0,0,1]
	v_pk_fma_f16 v10, v11, 2.0, v6 op_sel_hi:[1,0,1] neg_lo:[0,0,1] neg_hi:[0,0,1]
	;; [unrolled: 1-line block ×4, first 2 shown]
	ds_write2_b32 v19, v1, v6 offset0:24 offset1:206
	ds_write2_b32 v20, v7, v8 offset0:68 offset1:250
	ds_write2_b32 v22, v9, v10 offset1:182
	ds_write2_b32 v21, v11, v12 offset0:44 offset1:226
	s_waitcnt lgkmcnt(0)
	s_barrier
	buffer_gl0_inv
	ds_read_b32 v9, v22
	v_lshlrev_b32_e32 v1, 2, v0
                                        ; implicit-def: $vgpr8
                                        ; implicit-def: $vgpr6
                                        ; implicit-def: $vgpr7
	v_sub_nc_u32_e32 v1, 0, v1
	v_cmpx_ne_u32_e32 0, v0
	s_xor_b32 s5, exec_lo, s5
	s_cbranch_execz .LBB0_19
; %bb.18:
	v_add_co_u32 v6, s0, s1, v4
	v_add_co_ci_u32_e64 v7, s0, s4, v5, s0
	global_load_dword v6, v[6:7], off
	ds_read_b32 v7, v1 offset:5824
	s_waitcnt lgkmcnt(0)
	v_pk_add_f16 v8, v9, v7 neg_lo:[0,1] neg_hi:[0,1]
	v_pk_add_f16 v7, v7, v9
	v_bfi_b32 v9, 0xffff, v8, v7
	v_bfi_b32 v7, 0xffff, v7, v8
	v_pk_mul_f16 v9, v9, 0.5 op_sel_hi:[1,0]
	v_pk_mul_f16 v10, v7, 0.5 op_sel_hi:[1,0]
	s_waitcnt vmcnt(0)
	v_pk_mul_f16 v8, v6, v9 op_sel:[1,0]
	v_pk_mul_f16 v9, v6, v9 op_sel_hi:[0,1]
	v_pk_fma_f16 v6, v7, 0.5, v8 op_sel_hi:[1,0,1]
	v_sub_f16_e32 v7, v10, v8
	v_sub_f16_sdwa v10, v8, v10 dst_sel:DWORD dst_unused:UNUSED_PAD src0_sel:WORD_1 src1_sel:WORD_1
	v_pk_add_f16 v11, v6, v9 op_sel:[0,1] op_sel_hi:[1,0]
	v_pk_add_f16 v12, v6, v9 op_sel:[0,1] op_sel_hi:[1,0] neg_lo:[0,1] neg_hi:[0,1]
	v_sub_f16_sdwa v6, v7, v9 dst_sel:DWORD dst_unused:UNUSED_PAD src0_sel:DWORD src1_sel:WORD_1
	v_sub_f16_e32 v7, v10, v9
                                        ; implicit-def: $vgpr9
	v_bfi_b32 v8, 0xffff, v11, v12
.LBB0_19:
	s_andn2_saveexec_b32 s0, s5
	s_cbranch_execz .LBB0_21
; %bb.20:
	v_mov_b32_e32 v7, 0
	s_waitcnt lgkmcnt(0)
	v_alignbit_b32 v6, s0, v9, 16
	ds_read_u16 v8, v7 offset:2914
	v_pk_add_f16 v10, v6, v9
	v_sub_f16_sdwa v6, v9, v9 dst_sel:DWORD dst_unused:UNUSED_PAD src0_sel:DWORD src1_sel:WORD_1
	s_waitcnt lgkmcnt(0)
	v_xor_b32_e32 v9, 0x8000, v8
	v_pack_b32_f16 v8, v10, 0
	ds_write_b16 v7, v9 offset:2914
.LBB0_21:
	s_or_b32 exec_lo, exec_lo, s0
	s_waitcnt lgkmcnt(0)
	v_add_co_u32 v9, s0, s1, v4
	v_add_co_ci_u32_e64 v10, s0, s4, v5, s0
	s_clause 0x1
	global_load_dword v11, v[9:10], off offset:728
	global_load_dword v12, v[9:10], off offset:1456
	v_add_co_u32 v9, s0, 0x800, v9
	v_add_co_ci_u32_e64 v10, s0, 0, v10, s0
	global_load_dword v9, v[9:10], off offset:136
	ds_write_b16 v1, v7 offset:5826
	ds_write_b32 v22, v8
	ds_write_b16 v1, v6 offset:5824
	ds_read_b32 v6, v22 offset:728
	ds_read_b32 v7, v1 offset:5096
	s_waitcnt lgkmcnt(0)
	v_pk_add_f16 v8, v6, v7 neg_lo:[0,1] neg_hi:[0,1]
	v_pk_add_f16 v6, v6, v7
	v_bfi_b32 v7, 0xffff, v8, v6
	v_bfi_b32 v6, 0xffff, v6, v8
	v_pk_mul_f16 v7, v7, 0.5 op_sel_hi:[1,0]
	v_pk_mul_f16 v6, v6, 0.5 op_sel_hi:[1,0]
	s_waitcnt vmcnt(2)
	v_pk_fma_f16 v8, v11, v7, v6 op_sel:[1,0,0]
	v_pk_mul_f16 v10, v11, v7 op_sel_hi:[0,1]
	v_pk_fma_f16 v13, v11, v7, v6 op_sel:[1,0,0] neg_lo:[1,0,0] neg_hi:[1,0,0]
	v_pk_fma_f16 v6, v11, v7, v6 op_sel:[1,0,0] neg_lo:[0,0,1] neg_hi:[0,0,1]
	v_pk_add_f16 v7, v8, v10 op_sel:[0,1] op_sel_hi:[1,0]
	v_pk_add_f16 v8, v8, v10 op_sel:[0,1] op_sel_hi:[1,0] neg_lo:[0,1] neg_hi:[0,1]
	v_pk_add_f16 v11, v13, v10 op_sel:[0,1] op_sel_hi:[1,0] neg_lo:[0,1] neg_hi:[0,1]
	;; [unrolled: 1-line block ×3, first 2 shown]
	v_bfi_b32 v7, 0xffff, v7, v8
	v_bfi_b32 v6, 0xffff, v11, v6
	ds_write_b32 v22, v7 offset:728
	ds_write_b32 v1, v6 offset:5096
	ds_read_b32 v6, v22 offset:1456
	ds_read_b32 v7, v1 offset:4368
	s_waitcnt lgkmcnt(0)
	v_pk_add_f16 v8, v6, v7 neg_lo:[0,1] neg_hi:[0,1]
	v_pk_add_f16 v6, v6, v7
	v_bfi_b32 v7, 0xffff, v8, v6
	v_bfi_b32 v6, 0xffff, v6, v8
	v_pk_mul_f16 v7, v7, 0.5 op_sel_hi:[1,0]
	v_pk_mul_f16 v6, v6, 0.5 op_sel_hi:[1,0]
	s_waitcnt vmcnt(1)
	v_pk_mul_f16 v10, v12, v7 op_sel_hi:[0,1]
	v_pk_fma_f16 v8, v12, v7, v6 op_sel:[1,0,0]
	v_pk_fma_f16 v11, v12, v7, v6 op_sel:[1,0,0] neg_lo:[1,0,0] neg_hi:[1,0,0]
	v_pk_fma_f16 v6, v12, v7, v6 op_sel:[1,0,0] neg_lo:[0,0,1] neg_hi:[0,0,1]
	v_pk_add_f16 v7, v8, v10 op_sel:[0,1] op_sel_hi:[1,0]
	v_pk_add_f16 v8, v8, v10 op_sel:[0,1] op_sel_hi:[1,0] neg_lo:[0,1] neg_hi:[0,1]
	v_pk_add_f16 v11, v11, v10 op_sel:[0,1] op_sel_hi:[1,0] neg_lo:[0,1] neg_hi:[0,1]
	;; [unrolled: 1-line block ×3, first 2 shown]
	v_bfi_b32 v7, 0xffff, v7, v8
	v_bfi_b32 v6, 0xffff, v11, v6
	ds_write_b32 v22, v7 offset:1456
	ds_write_b32 v1, v6 offset:4368
	ds_read_b32 v6, v22 offset:2184
	ds_read_b32 v7, v1 offset:3640
	s_waitcnt lgkmcnt(0)
	v_pk_add_f16 v8, v6, v7 neg_lo:[0,1] neg_hi:[0,1]
	v_pk_add_f16 v6, v6, v7
	v_bfi_b32 v7, 0xffff, v8, v6
	v_bfi_b32 v6, 0xffff, v6, v8
	v_pk_mul_f16 v7, v7, 0.5 op_sel_hi:[1,0]
	v_pk_mul_f16 v6, v6, 0.5 op_sel_hi:[1,0]
	s_waitcnt vmcnt(0)
	v_pk_mul_f16 v10, v9, v7 op_sel_hi:[0,1]
	v_pk_fma_f16 v8, v9, v7, v6 op_sel:[1,0,0]
	v_pk_fma_f16 v11, v9, v7, v6 op_sel:[1,0,0] neg_lo:[1,0,0] neg_hi:[1,0,0]
	v_pk_fma_f16 v6, v9, v7, v6 op_sel:[1,0,0] neg_lo:[0,0,1] neg_hi:[0,0,1]
	v_pk_add_f16 v7, v8, v10 op_sel:[0,1] op_sel_hi:[1,0]
	v_pk_add_f16 v8, v8, v10 op_sel:[0,1] op_sel_hi:[1,0] neg_lo:[0,1] neg_hi:[0,1]
	v_pk_add_f16 v9, v11, v10 op_sel:[0,1] op_sel_hi:[1,0] neg_lo:[0,1] neg_hi:[0,1]
	;; [unrolled: 1-line block ×3, first 2 shown]
	v_bfi_b32 v7, 0xffff, v7, v8
	v_bfi_b32 v6, 0xffff, v9, v6
	ds_write_b32 v22, v7 offset:2184
	ds_write_b32 v1, v6 offset:3640
	s_waitcnt lgkmcnt(0)
	s_barrier
	buffer_gl0_inv
	s_and_saveexec_b32 s0, vcc_lo
	s_cbranch_execz .LBB0_24
; %bb.22:
	v_add_nc_u32_e32 v1, 0x500, v22
	v_add_nc_u32_e32 v10, 0xb00, v22
	;; [unrolled: 1-line block ×3, first 2 shown]
	ds_read2_b32 v[6:7], v22 offset1:182
	ds_read2_b32 v[8:9], v1 offset0:44 offset1:226
	v_add_co_u32 v1, vcc_lo, s2, v2
	ds_read2_b32 v[10:11], v10 offset0:24 offset1:206
	ds_read2_b32 v[12:13], v12 offset0:68 offset1:250
	v_add_co_ci_u32_e32 v2, vcc_lo, s3, v3, vcc_lo
	v_add_co_u32 v3, vcc_lo, v1, v4
	v_add_co_ci_u32_e32 v4, vcc_lo, v2, v5, vcc_lo
	v_add_co_u32 v14, vcc_lo, 0x800, v3
	v_add_co_ci_u32_e32 v15, vcc_lo, 0, v4, vcc_lo
	v_add_co_u32 v16, vcc_lo, 0x1000, v3
	v_add_co_ci_u32_e32 v17, vcc_lo, 0, v4, vcc_lo
	v_cmp_eq_u32_e32 vcc_lo, 0xb5, v0
	s_waitcnt lgkmcnt(3)
	global_store_dword v[3:4], v6, off
	global_store_dword v[3:4], v7, off offset:728
	s_waitcnt lgkmcnt(2)
	global_store_dword v[3:4], v8, off offset:1456
	global_store_dword v[14:15], v9, off offset:136
	s_waitcnt lgkmcnt(1)
	global_store_dword v[14:15], v10, off offset:864
	;; [unrolled: 3-line block ×3, first 2 shown]
	global_store_dword v[16:17], v13, off offset:1000
	s_and_b32 exec_lo, exec_lo, vcc_lo
	s_cbranch_execz .LBB0_24
; %bb.23:
	v_mov_b32_e32 v0, 0
	ds_read_b32 v3, v0 offset:5824
	v_add_co_u32 v0, vcc_lo, 0x1000, v1
	v_add_co_ci_u32_e32 v1, vcc_lo, 0, v2, vcc_lo
	s_waitcnt lgkmcnt(0)
	global_store_dword v[0:1], v3, off offset:1728
.LBB0_24:
	s_endpgm
	.section	.rodata,"a",@progbits
	.p2align	6, 0x0
	.amdhsa_kernel fft_rtc_fwd_len1456_factors_13_4_7_2_2_wgs_182_tpt_182_halfLds_half_ip_CI_unitstride_sbrr_R2C_dirReg
		.amdhsa_group_segment_fixed_size 0
		.amdhsa_private_segment_fixed_size 0
		.amdhsa_kernarg_size 88
		.amdhsa_user_sgpr_count 6
		.amdhsa_user_sgpr_private_segment_buffer 1
		.amdhsa_user_sgpr_dispatch_ptr 0
		.amdhsa_user_sgpr_queue_ptr 0
		.amdhsa_user_sgpr_kernarg_segment_ptr 1
		.amdhsa_user_sgpr_dispatch_id 0
		.amdhsa_user_sgpr_flat_scratch_init 0
		.amdhsa_user_sgpr_private_segment_size 0
		.amdhsa_wavefront_size32 1
		.amdhsa_uses_dynamic_stack 0
		.amdhsa_system_sgpr_private_segment_wavefront_offset 0
		.amdhsa_system_sgpr_workgroup_id_x 1
		.amdhsa_system_sgpr_workgroup_id_y 0
		.amdhsa_system_sgpr_workgroup_id_z 0
		.amdhsa_system_sgpr_workgroup_info 0
		.amdhsa_system_vgpr_workitem_id 0
		.amdhsa_next_free_vgpr 110
		.amdhsa_next_free_sgpr 21
		.amdhsa_reserve_vcc 1
		.amdhsa_reserve_flat_scratch 0
		.amdhsa_float_round_mode_32 0
		.amdhsa_float_round_mode_16_64 0
		.amdhsa_float_denorm_mode_32 3
		.amdhsa_float_denorm_mode_16_64 3
		.amdhsa_dx10_clamp 1
		.amdhsa_ieee_mode 1
		.amdhsa_fp16_overflow 0
		.amdhsa_workgroup_processor_mode 1
		.amdhsa_memory_ordered 1
		.amdhsa_forward_progress 0
		.amdhsa_shared_vgpr_count 0
		.amdhsa_exception_fp_ieee_invalid_op 0
		.amdhsa_exception_fp_denorm_src 0
		.amdhsa_exception_fp_ieee_div_zero 0
		.amdhsa_exception_fp_ieee_overflow 0
		.amdhsa_exception_fp_ieee_underflow 0
		.amdhsa_exception_fp_ieee_inexact 0
		.amdhsa_exception_int_div_zero 0
	.end_amdhsa_kernel
	.text
.Lfunc_end0:
	.size	fft_rtc_fwd_len1456_factors_13_4_7_2_2_wgs_182_tpt_182_halfLds_half_ip_CI_unitstride_sbrr_R2C_dirReg, .Lfunc_end0-fft_rtc_fwd_len1456_factors_13_4_7_2_2_wgs_182_tpt_182_halfLds_half_ip_CI_unitstride_sbrr_R2C_dirReg
                                        ; -- End function
	.section	.AMDGPU.csdata,"",@progbits
; Kernel info:
; codeLenInByte = 9288
; NumSgprs: 23
; NumVgprs: 110
; ScratchSize: 0
; MemoryBound: 0
; FloatMode: 240
; IeeeMode: 1
; LDSByteSize: 0 bytes/workgroup (compile time only)
; SGPRBlocks: 2
; VGPRBlocks: 13
; NumSGPRsForWavesPerEU: 23
; NumVGPRsForWavesPerEU: 110
; Occupancy: 9
; WaveLimiterHint : 1
; COMPUTE_PGM_RSRC2:SCRATCH_EN: 0
; COMPUTE_PGM_RSRC2:USER_SGPR: 6
; COMPUTE_PGM_RSRC2:TRAP_HANDLER: 0
; COMPUTE_PGM_RSRC2:TGID_X_EN: 1
; COMPUTE_PGM_RSRC2:TGID_Y_EN: 0
; COMPUTE_PGM_RSRC2:TGID_Z_EN: 0
; COMPUTE_PGM_RSRC2:TIDIG_COMP_CNT: 0
	.text
	.p2alignl 6, 3214868480
	.fill 48, 4, 3214868480
	.type	__hip_cuid_970f413f37ffa6fe,@object ; @__hip_cuid_970f413f37ffa6fe
	.section	.bss,"aw",@nobits
	.globl	__hip_cuid_970f413f37ffa6fe
__hip_cuid_970f413f37ffa6fe:
	.byte	0                               ; 0x0
	.size	__hip_cuid_970f413f37ffa6fe, 1

	.ident	"AMD clang version 19.0.0git (https://github.com/RadeonOpenCompute/llvm-project roc-6.4.0 25133 c7fe45cf4b819c5991fe208aaa96edf142730f1d)"
	.section	".note.GNU-stack","",@progbits
	.addrsig
	.addrsig_sym __hip_cuid_970f413f37ffa6fe
	.amdgpu_metadata
---
amdhsa.kernels:
  - .args:
      - .actual_access:  read_only
        .address_space:  global
        .offset:         0
        .size:           8
        .value_kind:     global_buffer
      - .offset:         8
        .size:           8
        .value_kind:     by_value
      - .actual_access:  read_only
        .address_space:  global
        .offset:         16
        .size:           8
        .value_kind:     global_buffer
      - .actual_access:  read_only
        .address_space:  global
        .offset:         24
        .size:           8
        .value_kind:     global_buffer
      - .offset:         32
        .size:           8
        .value_kind:     by_value
      - .actual_access:  read_only
        .address_space:  global
        .offset:         40
        .size:           8
        .value_kind:     global_buffer
      - .actual_access:  read_only
        .address_space:  global
        .offset:         48
        .size:           8
        .value_kind:     global_buffer
      - .offset:         56
        .size:           4
        .value_kind:     by_value
      - .actual_access:  read_only
        .address_space:  global
        .offset:         64
        .size:           8
        .value_kind:     global_buffer
      - .actual_access:  read_only
        .address_space:  global
        .offset:         72
        .size:           8
        .value_kind:     global_buffer
      - .address_space:  global
        .offset:         80
        .size:           8
        .value_kind:     global_buffer
    .group_segment_fixed_size: 0
    .kernarg_segment_align: 8
    .kernarg_segment_size: 88
    .language:       OpenCL C
    .language_version:
      - 2
      - 0
    .max_flat_workgroup_size: 182
    .name:           fft_rtc_fwd_len1456_factors_13_4_7_2_2_wgs_182_tpt_182_halfLds_half_ip_CI_unitstride_sbrr_R2C_dirReg
    .private_segment_fixed_size: 0
    .sgpr_count:     23
    .sgpr_spill_count: 0
    .symbol:         fft_rtc_fwd_len1456_factors_13_4_7_2_2_wgs_182_tpt_182_halfLds_half_ip_CI_unitstride_sbrr_R2C_dirReg.kd
    .uniform_work_group_size: 1
    .uses_dynamic_stack: false
    .vgpr_count:     110
    .vgpr_spill_count: 0
    .wavefront_size: 32
    .workgroup_processor_mode: 1
amdhsa.target:   amdgcn-amd-amdhsa--gfx1030
amdhsa.version:
  - 1
  - 2
...

	.end_amdgpu_metadata
